;; amdgpu-corpus repo=ROCm/rocFFT kind=compiled arch=gfx906 opt=O3
	.text
	.amdgcn_target "amdgcn-amd-amdhsa--gfx906"
	.amdhsa_code_object_version 6
	.protected	fft_rtc_fwd_len1404_factors_2_2_3_13_3_3_wgs_117_tpt_117_halfLds_sp_ip_CI_unitstride_sbrr_C2R_dirReg ; -- Begin function fft_rtc_fwd_len1404_factors_2_2_3_13_3_3_wgs_117_tpt_117_halfLds_sp_ip_CI_unitstride_sbrr_C2R_dirReg
	.globl	fft_rtc_fwd_len1404_factors_2_2_3_13_3_3_wgs_117_tpt_117_halfLds_sp_ip_CI_unitstride_sbrr_C2R_dirReg
	.p2align	8
	.type	fft_rtc_fwd_len1404_factors_2_2_3_13_3_3_wgs_117_tpt_117_halfLds_sp_ip_CI_unitstride_sbrr_C2R_dirReg,@function
fft_rtc_fwd_len1404_factors_2_2_3_13_3_3_wgs_117_tpt_117_halfLds_sp_ip_CI_unitstride_sbrr_C2R_dirReg: ; @fft_rtc_fwd_len1404_factors_2_2_3_13_3_3_wgs_117_tpt_117_halfLds_sp_ip_CI_unitstride_sbrr_C2R_dirReg
; %bb.0:
	s_load_dwordx2 s[2:3], s[4:5], 0x50
	s_load_dwordx4 s[8:11], s[4:5], 0x0
	s_load_dwordx2 s[12:13], s[4:5], 0x18
	v_mul_u32_u24_e32 v1, 0x231, v0
	v_add_u32_sdwa v5, s6, v1 dst_sel:DWORD dst_unused:UNUSED_PAD src0_sel:DWORD src1_sel:WORD_1
	v_mov_b32_e32 v3, 0
	s_waitcnt lgkmcnt(0)
	v_cmp_lt_u64_e64 s[0:1], s[10:11], 2
	v_mov_b32_e32 v1, 0
	v_mov_b32_e32 v6, v3
	s_and_b64 vcc, exec, s[0:1]
	v_mov_b32_e32 v2, 0
	s_cbranch_vccnz .LBB0_8
; %bb.1:
	s_load_dwordx2 s[0:1], s[4:5], 0x10
	s_add_u32 s6, s12, 8
	s_addc_u32 s7, s13, 0
	v_mov_b32_e32 v1, 0
	v_mov_b32_e32 v2, 0
	s_waitcnt lgkmcnt(0)
	s_add_u32 s14, s0, 8
	s_addc_u32 s15, s1, 0
	s_mov_b64 s[16:17], 1
.LBB0_2:                                ; =>This Inner Loop Header: Depth=1
	s_load_dwordx2 s[18:19], s[14:15], 0x0
                                        ; implicit-def: $vgpr7_vgpr8
	s_waitcnt lgkmcnt(0)
	v_or_b32_e32 v4, s19, v6
	v_cmp_ne_u64_e32 vcc, 0, v[3:4]
	s_and_saveexec_b64 s[0:1], vcc
	s_xor_b64 s[20:21], exec, s[0:1]
	s_cbranch_execz .LBB0_4
; %bb.3:                                ;   in Loop: Header=BB0_2 Depth=1
	v_cvt_f32_u32_e32 v4, s18
	v_cvt_f32_u32_e32 v7, s19
	s_sub_u32 s0, 0, s18
	s_subb_u32 s1, 0, s19
	v_mac_f32_e32 v4, 0x4f800000, v7
	v_rcp_f32_e32 v4, v4
	v_mul_f32_e32 v4, 0x5f7ffffc, v4
	v_mul_f32_e32 v7, 0x2f800000, v4
	v_trunc_f32_e32 v7, v7
	v_mac_f32_e32 v4, 0xcf800000, v7
	v_cvt_u32_f32_e32 v7, v7
	v_cvt_u32_f32_e32 v4, v4
	v_mul_lo_u32 v8, s0, v7
	v_mul_hi_u32 v9, s0, v4
	v_mul_lo_u32 v11, s1, v4
	v_mul_lo_u32 v10, s0, v4
	v_add_u32_e32 v8, v9, v8
	v_add_u32_e32 v8, v8, v11
	v_mul_hi_u32 v9, v4, v10
	v_mul_lo_u32 v11, v4, v8
	v_mul_hi_u32 v13, v4, v8
	v_mul_hi_u32 v12, v7, v10
	v_mul_lo_u32 v10, v7, v10
	v_mul_hi_u32 v14, v7, v8
	v_add_co_u32_e32 v9, vcc, v9, v11
	v_addc_co_u32_e32 v11, vcc, 0, v13, vcc
	v_mul_lo_u32 v8, v7, v8
	v_add_co_u32_e32 v9, vcc, v9, v10
	v_addc_co_u32_e32 v9, vcc, v11, v12, vcc
	v_addc_co_u32_e32 v10, vcc, 0, v14, vcc
	v_add_co_u32_e32 v8, vcc, v9, v8
	v_addc_co_u32_e32 v9, vcc, 0, v10, vcc
	v_add_co_u32_e32 v4, vcc, v4, v8
	v_addc_co_u32_e32 v7, vcc, v7, v9, vcc
	v_mul_lo_u32 v8, s0, v7
	v_mul_hi_u32 v9, s0, v4
	v_mul_lo_u32 v10, s1, v4
	v_mul_lo_u32 v11, s0, v4
	v_add_u32_e32 v8, v9, v8
	v_add_u32_e32 v8, v8, v10
	v_mul_lo_u32 v12, v4, v8
	v_mul_hi_u32 v13, v4, v11
	v_mul_hi_u32 v14, v4, v8
	;; [unrolled: 1-line block ×3, first 2 shown]
	v_mul_lo_u32 v11, v7, v11
	v_mul_hi_u32 v9, v7, v8
	v_add_co_u32_e32 v12, vcc, v13, v12
	v_addc_co_u32_e32 v13, vcc, 0, v14, vcc
	v_mul_lo_u32 v8, v7, v8
	v_add_co_u32_e32 v11, vcc, v12, v11
	v_addc_co_u32_e32 v10, vcc, v13, v10, vcc
	v_addc_co_u32_e32 v9, vcc, 0, v9, vcc
	v_add_co_u32_e32 v8, vcc, v10, v8
	v_addc_co_u32_e32 v9, vcc, 0, v9, vcc
	v_add_co_u32_e32 v4, vcc, v4, v8
	v_addc_co_u32_e32 v9, vcc, v7, v9, vcc
	v_mad_u64_u32 v[7:8], s[0:1], v5, v9, 0
	v_mul_hi_u32 v10, v5, v4
	v_add_co_u32_e32 v11, vcc, v10, v7
	v_addc_co_u32_e32 v12, vcc, 0, v8, vcc
	v_mad_u64_u32 v[7:8], s[0:1], v6, v4, 0
	v_mad_u64_u32 v[9:10], s[0:1], v6, v9, 0
	v_add_co_u32_e32 v4, vcc, v11, v7
	v_addc_co_u32_e32 v4, vcc, v12, v8, vcc
	v_addc_co_u32_e32 v7, vcc, 0, v10, vcc
	v_add_co_u32_e32 v4, vcc, v4, v9
	v_addc_co_u32_e32 v9, vcc, 0, v7, vcc
	v_mul_lo_u32 v10, s19, v4
	v_mul_lo_u32 v11, s18, v9
	v_mad_u64_u32 v[7:8], s[0:1], s18, v4, 0
	v_add3_u32 v8, v8, v11, v10
	v_sub_u32_e32 v10, v6, v8
	v_mov_b32_e32 v11, s19
	v_sub_co_u32_e32 v7, vcc, v5, v7
	v_subb_co_u32_e64 v10, s[0:1], v10, v11, vcc
	v_subrev_co_u32_e64 v11, s[0:1], s18, v7
	v_subbrev_co_u32_e64 v10, s[0:1], 0, v10, s[0:1]
	v_cmp_le_u32_e64 s[0:1], s19, v10
	v_cndmask_b32_e64 v12, 0, -1, s[0:1]
	v_cmp_le_u32_e64 s[0:1], s18, v11
	v_cndmask_b32_e64 v11, 0, -1, s[0:1]
	v_cmp_eq_u32_e64 s[0:1], s19, v10
	v_cndmask_b32_e64 v10, v12, v11, s[0:1]
	v_add_co_u32_e64 v11, s[0:1], 2, v4
	v_addc_co_u32_e64 v12, s[0:1], 0, v9, s[0:1]
	v_add_co_u32_e64 v13, s[0:1], 1, v4
	v_addc_co_u32_e64 v14, s[0:1], 0, v9, s[0:1]
	v_subb_co_u32_e32 v8, vcc, v6, v8, vcc
	v_cmp_ne_u32_e64 s[0:1], 0, v10
	v_cmp_le_u32_e32 vcc, s19, v8
	v_cndmask_b32_e64 v10, v14, v12, s[0:1]
	v_cndmask_b32_e64 v12, 0, -1, vcc
	v_cmp_le_u32_e32 vcc, s18, v7
	v_cndmask_b32_e64 v7, 0, -1, vcc
	v_cmp_eq_u32_e32 vcc, s19, v8
	v_cndmask_b32_e32 v7, v12, v7, vcc
	v_cmp_ne_u32_e32 vcc, 0, v7
	v_cndmask_b32_e64 v7, v13, v11, s[0:1]
	v_cndmask_b32_e32 v8, v9, v10, vcc
	v_cndmask_b32_e32 v7, v4, v7, vcc
.LBB0_4:                                ;   in Loop: Header=BB0_2 Depth=1
	s_andn2_saveexec_b64 s[0:1], s[20:21]
	s_cbranch_execz .LBB0_6
; %bb.5:                                ;   in Loop: Header=BB0_2 Depth=1
	v_cvt_f32_u32_e32 v4, s18
	s_sub_i32 s20, 0, s18
	v_rcp_iflag_f32_e32 v4, v4
	v_mul_f32_e32 v4, 0x4f7ffffe, v4
	v_cvt_u32_f32_e32 v4, v4
	v_mul_lo_u32 v7, s20, v4
	v_mul_hi_u32 v7, v4, v7
	v_add_u32_e32 v4, v4, v7
	v_mul_hi_u32 v4, v5, v4
	v_mul_lo_u32 v7, v4, s18
	v_add_u32_e32 v8, 1, v4
	v_sub_u32_e32 v7, v5, v7
	v_subrev_u32_e32 v9, s18, v7
	v_cmp_le_u32_e32 vcc, s18, v7
	v_cndmask_b32_e32 v7, v7, v9, vcc
	v_cndmask_b32_e32 v4, v4, v8, vcc
	v_add_u32_e32 v8, 1, v4
	v_cmp_le_u32_e32 vcc, s18, v7
	v_cndmask_b32_e32 v7, v4, v8, vcc
	v_mov_b32_e32 v8, v3
.LBB0_6:                                ;   in Loop: Header=BB0_2 Depth=1
	s_or_b64 exec, exec, s[0:1]
	v_mul_lo_u32 v4, v8, s18
	v_mul_lo_u32 v11, v7, s19
	v_mad_u64_u32 v[9:10], s[0:1], v7, s18, 0
	s_load_dwordx2 s[0:1], s[6:7], 0x0
	s_add_u32 s16, s16, 1
	v_add3_u32 v4, v10, v11, v4
	v_sub_co_u32_e32 v5, vcc, v5, v9
	v_subb_co_u32_e32 v4, vcc, v6, v4, vcc
	s_waitcnt lgkmcnt(0)
	v_mul_lo_u32 v4, s0, v4
	v_mul_lo_u32 v6, s1, v5
	v_mad_u64_u32 v[1:2], s[0:1], s0, v5, v[1:2]
	s_addc_u32 s17, s17, 0
	s_add_u32 s6, s6, 8
	v_add3_u32 v2, v6, v2, v4
	v_mov_b32_e32 v4, s10
	v_mov_b32_e32 v5, s11
	s_addc_u32 s7, s7, 0
	v_cmp_ge_u64_e32 vcc, s[16:17], v[4:5]
	s_add_u32 s14, s14, 8
	s_addc_u32 s15, s15, 0
	s_cbranch_vccnz .LBB0_9
; %bb.7:                                ;   in Loop: Header=BB0_2 Depth=1
	v_mov_b32_e32 v5, v7
	v_mov_b32_e32 v6, v8
	s_branch .LBB0_2
.LBB0_8:
	v_mov_b32_e32 v8, v6
	v_mov_b32_e32 v7, v5
.LBB0_9:
	s_lshl_b64 s[0:1], s[10:11], 3
	s_add_u32 s0, s12, s0
	s_addc_u32 s1, s13, s1
	s_load_dwordx2 s[6:7], s[0:1], 0x0
	s_load_dwordx2 s[10:11], s[4:5], 0x20
	s_waitcnt lgkmcnt(0)
	v_mad_u64_u32 v[1:2], s[0:1], s6, v7, v[1:2]
	v_mul_lo_u32 v3, s6, v8
	v_mul_lo_u32 v4, s7, v7
	s_mov_b32 s0, 0x2302303
	v_mul_hi_u32 v5, v0, s0
	v_cmp_gt_u64_e64 s[0:1], s[10:11], v[7:8]
	v_add3_u32 v2, v4, v2, v3
	v_lshlrev_b64 v[50:51], 3, v[1:2]
	v_mul_u32_u24_e32 v3, 0x75, v5
	v_sub_u32_e32 v48, v0, v3
	s_and_saveexec_b64 s[4:5], s[0:1]
	s_cbranch_execz .LBB0_13
; %bb.10:
	v_mov_b32_e32 v49, 0
	v_mov_b32_e32 v0, s3
	v_add_co_u32_e32 v1, vcc, s2, v50
	v_lshlrev_b64 v[2:3], 3, v[48:49]
	v_addc_co_u32_e32 v0, vcc, v0, v51, vcc
	v_add_co_u32_e32 v2, vcc, v1, v2
	v_addc_co_u32_e32 v3, vcc, v0, v3, vcc
	s_movk_i32 s6, 0x1000
	v_add_co_u32_e32 v12, vcc, s6, v2
	v_addc_co_u32_e32 v13, vcc, 0, v3, vcc
	v_add_co_u32_e32 v14, vcc, 0x2000, v2
	global_load_dwordx2 v[4:5], v[2:3], off offset:2808
	global_load_dwordx2 v[6:7], v[2:3], off
	global_load_dwordx2 v[8:9], v[2:3], off offset:1872
	global_load_dwordx2 v[10:11], v[2:3], off offset:936
	v_addc_co_u32_e32 v15, vcc, 0, v3, vcc
	global_load_dwordx2 v[16:17], v[2:3], off offset:3744
	global_load_dwordx2 v[18:19], v[12:13], off offset:584
	;; [unrolled: 1-line block ×8, first 2 shown]
	v_lshl_add_u32 v2, v48, 3, 0
	s_movk_i32 s6, 0x74
	v_add_u32_e32 v3, 0x400, v2
	v_cmp_eq_u32_e32 vcc, s6, v48
	v_add_u32_e32 v12, 0xc00, v2
	v_add_u32_e32 v13, 0x1400, v2
	v_add_u32_e32 v14, 0x1c00, v2
	v_add_u32_e32 v15, 0x2400, v2
	s_waitcnt vmcnt(9)
	ds_write2_b64 v3, v[8:9], v[4:5] offset0:106 offset1:223
	s_waitcnt vmcnt(8)
	ds_write2_b64 v2, v[6:7], v[10:11] offset1:117
	s_waitcnt vmcnt(6)
	ds_write2_b64 v12, v[16:17], v[18:19] offset0:84 offset1:201
	s_waitcnt vmcnt(4)
	ds_write2_b64 v13, v[20:21], v[22:23] offset0:62 offset1:179
	;; [unrolled: 2-line block ×4, first 2 shown]
	s_and_saveexec_b64 s[6:7], vcc
	s_cbranch_execz .LBB0_12
; %bb.11:
	v_add_co_u32_e32 v1, vcc, 0x2000, v1
	v_addc_co_u32_e32 v2, vcc, 0, v0, vcc
	global_load_dwordx2 v[0:1], v[1:2], off offset:3040
	v_mov_b32_e32 v48, 0x74
	s_waitcnt vmcnt(0)
	ds_write_b64 v49, v[0:1] offset:11232
.LBB0_12:
	s_or_b64 exec, exec, s[6:7]
.LBB0_13:
	s_or_b64 exec, exec, s[4:5]
	v_lshlrev_b32_e32 v0, 3, v48
	v_add_u32_e32 v59, 0, v0
	s_waitcnt lgkmcnt(0)
	s_barrier
	v_sub_u32_e32 v4, 0, v0
	ds_read_b32 v5, v59
	ds_read_b32 v6, v4 offset:11232
	s_add_u32 s6, s8, 0x2bd0
	s_addc_u32 s7, s9, 0
	v_cmp_ne_u32_e32 vcc, 0, v48
                                        ; implicit-def: $vgpr2_vgpr3
	s_waitcnt lgkmcnt(0)
	v_add_f32_e32 v0, v6, v5
	v_sub_f32_e32 v1, v5, v6
	s_and_saveexec_b64 s[4:5], vcc
	s_xor_b64 s[4:5], exec, s[4:5]
	s_cbranch_execz .LBB0_15
; %bb.14:
	v_mov_b32_e32 v49, 0
	v_lshlrev_b64 v[0:1], 3, v[48:49]
	v_mov_b32_e32 v2, s7
	v_add_co_u32_e32 v0, vcc, s6, v0
	v_addc_co_u32_e32 v1, vcc, v2, v1, vcc
	global_load_dwordx2 v[2:3], v[0:1], off
	ds_read_b32 v0, v4 offset:11236
	ds_read_b32 v1, v59 offset:4
	v_add_f32_e32 v7, v6, v5
	v_sub_f32_e32 v8, v5, v6
	s_waitcnt lgkmcnt(0)
	v_add_f32_e32 v9, v0, v1
	v_sub_f32_e32 v0, v1, v0
	s_waitcnt vmcnt(0)
	v_fma_f32 v10, v8, v3, v7
	v_fma_f32 v1, v9, v3, v0
	v_fma_f32 v5, -v8, v3, v7
	v_fma_f32 v6, v9, v3, -v0
	v_fma_f32 v0, -v2, v9, v10
	v_fmac_f32_e32 v1, v8, v2
	v_fmac_f32_e32 v5, v2, v9
	;; [unrolled: 1-line block ×3, first 2 shown]
	v_mov_b32_e32 v2, v48
	ds_write_b64 v4, v[5:6] offset:11232
	v_mov_b32_e32 v3, v49
.LBB0_15:
	s_andn2_saveexec_b64 s[4:5], s[4:5]
	s_cbranch_execz .LBB0_17
; %bb.16:
	v_mov_b32_e32 v7, 0
	ds_read_b64 v[2:3], v7 offset:5616
	s_waitcnt lgkmcnt(0)
	v_add_f32_e32 v5, v2, v2
	v_mul_f32_e32 v6, -2.0, v3
	v_mov_b32_e32 v2, 0
	v_mov_b32_e32 v3, 0
	ds_write_b64 v7, v[5:6] offset:5616
.LBB0_17:
	s_or_b64 exec, exec, s[4:5]
	v_lshlrev_b64 v[2:3], 3, v[2:3]
	v_mov_b32_e32 v5, s7
	v_add_co_u32_e32 v2, vcc, s6, v2
	v_addc_co_u32_e32 v3, vcc, v5, v3, vcc
	global_load_dwordx2 v[5:6], v[2:3], off offset:936
	global_load_dwordx2 v[7:8], v[2:3], off offset:1872
	;; [unrolled: 1-line block ×4, first 2 shown]
	s_movk_i32 s4, 0x1000
	v_add_co_u32_e32 v2, vcc, s4, v2
	ds_write_b64 v59, v[0:1]
	v_addc_co_u32_e32 v3, vcc, 0, v3, vcc
	ds_read_b64 v[0:1], v59 offset:936
	ds_read_b64 v[13:14], v4 offset:10296
	global_load_dwordx2 v[2:3], v[2:3], off offset:584
	v_add_u32_e32 v24, 0x400, v59
	v_add_u32_e32 v23, 0x1c00, v59
	v_add_u32_e32 v25, 0xc00, v59
	s_waitcnt lgkmcnt(0)
	v_add_f32_e32 v15, v0, v13
	v_add_f32_e32 v16, v14, v1
	v_sub_f32_e32 v17, v0, v13
	v_sub_f32_e32 v0, v1, v14
	v_add_u32_e32 v34, 0x2400, v59
	v_lshl_add_u32 v21, v48, 3, v59
	v_add_u32_e32 v49, 0x75, v48
	v_lshl_add_u32 v22, v49, 4, 0
	v_add_u32_e32 v61, 0xea, v48
	v_add_u32_e32 v60, 0x15f, v48
	;; [unrolled: 1-line block ×4, first 2 shown]
	v_and_b32_e32 v37, 1, v60
	v_and_b32_e32 v38, 1, v48
	v_and_b32_e32 v39, 1, v36
	v_and_b32_e32 v41, 1, v49
	s_movk_i32 s4, 0xfc
	v_lshlrev_b32_e32 v56, 1, v49
	v_lshlrev_b32_e32 v55, 1, v61
                                        ; implicit-def: $vgpr58
	s_waitcnt vmcnt(4)
	v_fma_f32 v18, v17, v6, v15
	v_fma_f32 v1, v16, v6, v0
	v_fma_f32 v13, -v17, v6, v15
	v_fma_f32 v14, v16, v6, -v0
	v_fma_f32 v0, -v5, v16, v18
	v_fmac_f32_e32 v1, v17, v5
	v_fmac_f32_e32 v13, v5, v16
	;; [unrolled: 1-line block ×3, first 2 shown]
	ds_write_b64 v59, v[0:1] offset:936
	ds_write_b64 v4, v[13:14] offset:10296
	ds_read_b64 v[0:1], v59 offset:1872
	ds_read_b64 v[5:6], v4 offset:9360
	s_waitcnt lgkmcnt(0)
	v_add_f32_e32 v13, v0, v5
	v_add_f32_e32 v14, v6, v1
	v_sub_f32_e32 v15, v0, v5
	v_sub_f32_e32 v0, v1, v6
	s_waitcnt vmcnt(3)
	v_fma_f32 v16, v15, v8, v13
	v_fma_f32 v1, v14, v8, v0
	v_fma_f32 v5, -v15, v8, v13
	v_fma_f32 v6, v14, v8, -v0
	v_fma_f32 v0, -v7, v14, v16
	v_fmac_f32_e32 v1, v15, v7
	v_fmac_f32_e32 v5, v7, v14
	;; [unrolled: 1-line block ×3, first 2 shown]
	ds_write_b64 v59, v[0:1] offset:1872
	ds_write_b64 v4, v[5:6] offset:9360
	ds_read_b64 v[0:1], v59 offset:2808
	ds_read_b64 v[5:6], v4 offset:8424
	s_waitcnt lgkmcnt(0)
	v_add_f32_e32 v7, v0, v5
	v_add_f32_e32 v8, v6, v1
	v_sub_f32_e32 v13, v0, v5
	v_sub_f32_e32 v0, v1, v6
	s_waitcnt vmcnt(2)
	v_fma_f32 v14, v13, v10, v7
	v_fma_f32 v1, v8, v10, v0
	v_fma_f32 v5, -v13, v10, v7
	v_fma_f32 v6, v8, v10, -v0
	v_fma_f32 v0, -v9, v8, v14
	v_fmac_f32_e32 v1, v13, v9
	v_fmac_f32_e32 v5, v9, v8
	;; [unrolled: 1-line block ×3, first 2 shown]
	ds_write_b64 v59, v[0:1] offset:2808
	ds_write_b64 v4, v[5:6] offset:8424
	ds_read_b64 v[5:6], v59 offset:3744
	ds_read_b64 v[7:8], v4 offset:7488
	v_add_u32_e32 v0, 0x1400, v59
	s_waitcnt lgkmcnt(0)
	v_add_f32_e32 v1, v5, v7
	v_add_f32_e32 v9, v8, v6
	v_sub_f32_e32 v10, v5, v7
	v_sub_f32_e32 v5, v6, v8
	s_waitcnt vmcnt(1)
	v_fma_f32 v13, v10, v12, v1
	v_fma_f32 v6, v9, v12, v5
	v_fma_f32 v7, -v10, v12, v1
	v_fma_f32 v8, v9, v12, -v5
	v_fma_f32 v5, -v11, v9, v13
	v_fmac_f32_e32 v6, v10, v11
	v_fmac_f32_e32 v7, v11, v9
	;; [unrolled: 1-line block ×3, first 2 shown]
	ds_write_b64 v59, v[5:6] offset:3744
	ds_write_b64 v4, v[7:8] offset:7488
	ds_read_b64 v[5:6], v59 offset:4680
	ds_read_b64 v[7:8], v4 offset:6552
	s_waitcnt lgkmcnt(0)
	v_add_f32_e32 v1, v5, v7
	v_add_f32_e32 v9, v8, v6
	v_sub_f32_e32 v10, v5, v7
	v_sub_f32_e32 v5, v6, v8
	s_waitcnt vmcnt(0)
	v_fma_f32 v11, v10, v3, v1
	v_fma_f32 v6, v9, v3, v5
	v_fma_f32 v7, -v10, v3, v1
	v_fma_f32 v8, v9, v3, -v5
	v_fma_f32 v5, -v2, v9, v11
	v_fmac_f32_e32 v6, v10, v2
	v_fmac_f32_e32 v7, v2, v9
	v_fmac_f32_e32 v8, v10, v2
	ds_write_b64 v59, v[5:6] offset:4680
	ds_write_b64 v4, v[7:8] offset:6552
	s_waitcnt lgkmcnt(0)
	s_barrier
	s_barrier
	ds_read2_b64 v[1:4], v59 offset1:117
	ds_read2_b64 v[5:8], v0 offset0:62 offset1:179
	ds_read2_b64 v[9:12], v24 offset0:106 offset1:223
	;; [unrolled: 1-line block ×5, first 2 shown]
	s_waitcnt lgkmcnt(4)
	v_sub_f32_e32 v5, v1, v5
	v_sub_f32_e32 v6, v2, v6
	;; [unrolled: 1-line block ×4, first 2 shown]
	v_fma_f32 v1, v1, 2.0, -v5
	v_fma_f32 v2, v2, 2.0, -v6
	s_waitcnt lgkmcnt(0)
	s_barrier
	v_fma_f32 v3, v3, 2.0, -v7
	v_fma_f32 v4, v4, 2.0, -v8
	ds_write2_b64 v21, v[1:2], v[5:6] offset1:1
	ds_write2_b64 v22, v[3:4], v[7:8] offset1:1
	v_sub_f32_e32 v1, v9, v13
	v_sub_f32_e32 v2, v10, v14
	v_fma_f32 v3, v9, 2.0, -v1
	v_fma_f32 v4, v10, 2.0, -v2
	v_lshl_add_u32 v5, v61, 4, 0
	ds_write2_b64 v5, v[3:4], v[1:2] offset1:1
	v_sub_f32_e32 v1, v11, v15
	v_sub_f32_e32 v2, v12, v16
	v_fma_f32 v3, v11, 2.0, -v1
	v_fma_f32 v4, v12, 2.0, -v2
	v_sub_f32_e32 v5, v17, v26
	v_sub_f32_e32 v6, v18, v27
	v_lshl_add_u32 v13, v60, 4, 0
	v_sub_f32_e32 v7, v19, v28
	v_sub_f32_e32 v8, v20, v29
	v_fma_f32 v9, v17, 2.0, -v5
	v_fma_f32 v10, v18, 2.0, -v6
	ds_write2_b64 v13, v[3:4], v[1:2] offset1:1
	v_lshl_add_u32 v1, v35, 4, 0
	v_fma_f32 v11, v19, 2.0, -v7
	v_fma_f32 v12, v20, 2.0, -v8
	ds_write2_b64 v1, v[9:10], v[5:6] offset1:1
	v_lshl_add_u32 v1, v36, 4, 0
	ds_write2_b64 v1, v[11:12], v[7:8] offset1:1
	v_lshlrev_b32_e32 v1, 3, v37
	s_waitcnt lgkmcnt(0)
	s_barrier
	global_load_dwordx2 v[21:22], v1, s[8:9]
	v_lshlrev_b32_e32 v1, 3, v38
	global_load_dwordx2 v[30:31], v1, s[8:9]
	v_lshlrev_b32_e32 v1, 3, v39
	global_load_dword v40, v1, s[8:9] offset:4
	global_load_dwordx2 v[32:33], v1, s[8:9]
	v_lshlrev_b32_e32 v1, 3, v41
	global_load_dword v42, v1, s[8:9]
	ds_read2_b64 v[1:4], v23 offset0:40 offset1:157
	ds_read2_b64 v[5:8], v34 offset0:18 offset1:135
	;; [unrolled: 1-line block ×3, first 2 shown]
	ds_read2_b64 v[13:16], v59 offset1:117
	ds_read2_b64 v[17:20], v24 offset0:106 offset1:223
	ds_read2_b64 v[26:29], v25 offset0:84 offset1:201
	s_waitcnt vmcnt(0) lgkmcnt(0)
	s_barrier
	v_mul_f32_e32 v43, v22, v4
	v_mul_f32_e32 v22, v22, v3
	;; [unrolled: 1-line block ×10, first 2 shown]
	v_fma_f32 v43, v21, v3, -v43
	v_fmac_f32_e32 v22, v21, v4
	v_fma_f32 v21, v30, v1, -v44
	v_fma_f32 v1, v30, v9, -v52
	v_fmac_f32_e32 v31, v30, v10
	v_lshlrev_b32_e32 v52, 1, v48
	v_mul_f32_e32 v54, v33, v12
	v_mul_f32_e32 v33, v33, v11
	v_fmac_f32_e32 v45, v30, v2
	v_fmac_f32_e32 v40, v32, v8
	v_sub_f32_e32 v1, v13, v1
	v_sub_f32_e32 v2, v14, v31
	v_and_or_b32 v8, v52, s4, v38
	v_fmac_f32_e32 v53, v30, v6
	v_fma_f32 v6, v32, v7, -v46
	v_fma_f32 v7, v42, v11, -v54
	v_fmac_f32_e32 v33, v42, v12
	v_fma_f32 v3, v13, 2.0, -v1
	v_fma_f32 v4, v14, 2.0, -v2
	v_lshl_add_u32 v8, v8, 3, 0
	s_movk_i32 s4, 0x1fc
	ds_write2_b64 v8, v[3:4], v[1:2] offset1:2
	v_sub_f32_e32 v1, v15, v7
	v_sub_f32_e32 v2, v16, v33
	v_and_or_b32 v7, v56, s4, v41
	v_fma_f32 v3, v15, 2.0, -v1
	v_fma_f32 v4, v16, 2.0, -v2
	v_lshl_add_u32 v7, v7, 3, 0
	s_movk_i32 s4, 0x3fc
	ds_write2_b64 v7, v[3:4], v[1:2] offset1:2
	v_sub_f32_e32 v1, v17, v21
	v_sub_f32_e32 v2, v18, v45
	v_and_or_b32 v7, v55, s4, v38
	v_fma_f32 v3, v17, 2.0, -v1
	v_fma_f32 v4, v18, 2.0, -v2
	v_lshl_add_u32 v7, v7, 3, 0
	v_lshlrev_b32_e32 v54, 1, v60
	ds_write2_b64 v7, v[3:4], v[1:2] offset1:2
	v_sub_f32_e32 v1, v19, v43
	v_sub_f32_e32 v2, v20, v22
	v_and_or_b32 v7, v54, s4, v37
	v_fma_f32 v3, v19, 2.0, -v1
	v_fma_f32 v4, v20, 2.0, -v2
	v_lshl_add_u32 v7, v7, 3, 0
	v_fma_f32 v5, v30, v5, -v47
	ds_write2_b64 v7, v[3:4], v[1:2] offset1:2
	v_lshlrev_b32_e32 v3, 1, v35
	s_movk_i32 s4, 0x7fc
	v_sub_f32_e32 v1, v26, v5
	v_sub_f32_e32 v2, v27, v53
	v_and_or_b32 v5, v3, s4, v38
	v_fma_f32 v3, v26, 2.0, -v1
	v_fma_f32 v4, v27, 2.0, -v2
	v_lshl_add_u32 v5, v5, 3, 0
	ds_write2_b64 v5, v[3:4], v[1:2] offset1:2
	v_lshlrev_b32_e32 v5, 1, v36
	s_movk_i32 s4, 0x5fc
	v_sub_f32_e32 v1, v28, v6
	v_sub_f32_e32 v2, v29, v40
	v_and_or_b32 v5, v5, s4, v39
	v_fma_f32 v3, v28, 2.0, -v1
	v_fma_f32 v4, v29, 2.0, -v2
	v_lshl_add_u32 v5, v5, 3, 0
	v_and_b32_e32 v35, 3, v48
	ds_write2_b64 v5, v[3:4], v[1:2] offset1:2
	v_lshlrev_b32_e32 v1, 4, v35
	s_waitcnt lgkmcnt(0)
	s_barrier
	global_load_dwordx4 v[1:4], v1, s[8:9] offset:16
	v_and_b32_e32 v36, 3, v49
	v_lshlrev_b32_e32 v5, 4, v36
	global_load_dwordx4 v[5:8], v5, s[8:9] offset:16
	v_and_b32_e32 v37, 3, v61
	v_lshlrev_b32_e32 v9, 4, v37
	;; [unrolled: 3-line block ×3, first 2 shown]
	global_load_dwordx4 v[13:16], v13, s[8:9] offset:16
	ds_read2_b64 v[17:20], v25 offset0:84 offset1:201
	ds_read2_b64 v[26:29], v23 offset0:40 offset1:157
	;; [unrolled: 1-line block ×3, first 2 shown]
	s_movk_i32 s4, 0x6c
	v_cmp_gt_u32_e32 vcc, s4, v48
	s_waitcnt vmcnt(3) lgkmcnt(2)
	v_mul_f32_e32 v0, v2, v18
	v_mul_f32_e32 v21, v2, v17
	s_waitcnt lgkmcnt(1)
	v_mul_f32_e32 v2, v4, v27
	v_mul_f32_e32 v22, v4, v26
	v_fma_f32 v17, v1, v17, -v0
	v_fmac_f32_e32 v21, v1, v18
	v_fma_f32 v18, v3, v26, -v2
	v_fmac_f32_e32 v22, v3, v27
	ds_read2_b64 v[0:3], v34 offset0:18 offset1:135
	s_waitcnt vmcnt(2)
	v_mul_f32_e32 v4, v6, v20
	v_mul_f32_e32 v23, v6, v19
	v_fma_f32 v19, v5, v19, -v4
	s_waitcnt vmcnt(1) lgkmcnt(1)
	v_mul_f32_e32 v4, v10, v31
	v_mul_f32_e32 v6, v8, v29
	;; [unrolled: 1-line block ×3, first 2 shown]
	v_fma_f32 v27, v9, v30, -v4
	s_waitcnt lgkmcnt(0)
	v_mul_f32_e32 v4, v1, v12
	v_fmac_f32_e32 v23, v5, v20
	v_fma_f32 v26, v7, v28, -v6
	v_fmac_f32_e32 v39, v7, v29
	v_fma_f32 v29, v0, v11, -v4
	ds_read2_b64 v[4:7], v59 offset1:117
	v_mul_f32_e32 v28, v10, v30
	v_mul_f32_e32 v30, v0, v12
	s_waitcnt vmcnt(0)
	v_mul_f32_e32 v0, v33, v14
	v_mul_f32_e32 v34, v2, v16
	v_fmac_f32_e32 v28, v9, v31
	v_fma_f32 v31, v32, v13, -v0
	v_mul_f32_e32 v0, v3, v16
	v_fmac_f32_e32 v34, v3, v15
	v_add_f32_e32 v3, v21, v22
	v_fmac_f32_e32 v30, v1, v11
	v_mul_f32_e32 v32, v32, v14
	v_add_f32_e32 v1, v17, v18
	s_waitcnt lgkmcnt(0)
	v_fma_f32 v9, -0.5, v3, v5
	v_fmac_f32_e32 v32, v33, v13
	v_fma_f32 v33, v2, v15, -v0
	v_add_f32_e32 v0, v4, v17
	v_fma_f32 v8, -0.5, v1, v4
	v_sub_f32_e32 v4, v17, v18
	v_mov_b32_e32 v3, v9
	v_fmac_f32_e32 v3, 0xbf5db3d7, v4
	v_fmac_f32_e32 v9, 0x3f5db3d7, v4
	v_add_f32_e32 v4, v6, v19
	v_add_f32_e32 v10, v4, v26
	;; [unrolled: 1-line block ×3, first 2 shown]
	v_mov_b32_e32 v2, v8
	v_sub_f32_e32 v1, v21, v22
	v_fma_f32 v6, -0.5, v4, v6
	v_fmac_f32_e32 v2, 0x3f5db3d7, v1
	v_fmac_f32_e32 v8, 0xbf5db3d7, v1
	v_add_f32_e32 v1, v5, v21
	v_mov_b32_e32 v4, v6
	v_sub_f32_e32 v5, v23, v39
	v_fmac_f32_e32 v4, 0x3f5db3d7, v5
	v_fmac_f32_e32 v6, 0xbf5db3d7, v5
	v_add_f32_e32 v5, v7, v23
	v_add_f32_e32 v1, v1, v22
	v_add_f32_e32 v11, v5, v39
	v_add_f32_e32 v5, v23, v39
	ds_read2_b64 v[20:23], v24 offset0:106 offset1:223
	v_add_f32_e32 v15, v28, v30
	v_add_f32_e32 v13, v27, v29
	;; [unrolled: 1-line block ×3, first 2 shown]
	v_fmac_f32_e32 v7, -0.5, v5
	s_waitcnt lgkmcnt(0)
	v_fma_f32 v17, -0.5, v15, v21
	v_sub_f32_e32 v12, v19, v26
	v_fma_f32 v16, -0.5, v13, v20
	v_sub_f32_e32 v18, v27, v29
	v_mov_b32_e32 v15, v17
	v_add_f32_e32 v19, v31, v33
	v_mov_b32_e32 v5, v7
	v_mov_b32_e32 v14, v16
	v_sub_f32_e32 v13, v28, v30
	v_fmac_f32_e32 v15, 0xbf5db3d7, v18
	v_fmac_f32_e32 v17, 0x3f5db3d7, v18
	v_add_f32_e32 v18, v22, v31
	v_fma_f32 v22, -0.5, v19, v22
	v_fmac_f32_e32 v5, 0xbf5db3d7, v12
	v_fmac_f32_e32 v7, 0x3f5db3d7, v12
	v_add_f32_e32 v12, v20, v27
	v_fmac_f32_e32 v14, 0x3f5db3d7, v13
	v_fmac_f32_e32 v16, 0xbf5db3d7, v13
	v_add_f32_e32 v13, v21, v28
	v_mov_b32_e32 v20, v22
	v_sub_f32_e32 v19, v32, v34
	v_add_f32_e32 v21, v32, v34
	v_fmac_f32_e32 v20, 0x3f5db3d7, v19
	v_fmac_f32_e32 v22, 0xbf5db3d7, v19
	v_add_f32_e32 v19, v23, v32
	v_fmac_f32_e32 v23, -0.5, v21
	v_sub_f32_e32 v26, v31, v33
	v_mov_b32_e32 v21, v23
	v_fmac_f32_e32 v21, 0xbf5db3d7, v26
	v_fmac_f32_e32 v23, 0x3f5db3d7, v26
	v_lshrrev_b32_e32 v26, 2, v48
	v_mul_u32_u24_e32 v26, 12, v26
	v_or_b32_e32 v26, v26, v35
	v_lshl_add_u32 v26, v26, 3, 0
	s_barrier
	ds_write2_b64 v26, v[0:1], v[2:3] offset1:4
	ds_write_b64 v26, v[8:9] offset:64
	v_lshrrev_b32_e32 v26, 2, v49
	v_mul_u32_u24_e32 v26, 12, v26
	v_or_b32_e32 v26, v26, v36
	v_lshl_add_u32 v26, v26, 3, 0
	ds_write2_b64 v26, v[10:11], v[4:5] offset1:4
	ds_write_b64 v26, v[6:7] offset:64
	v_lshrrev_b32_e32 v26, 2, v61
	v_mul_u32_u24_e32 v26, 12, v26
	v_or_b32_e32 v26, v26, v37
	v_add_f32_e32 v12, v12, v29
	v_add_f32_e32 v13, v13, v30
	v_lshl_add_u32 v26, v26, 3, 0
	ds_write2_b64 v26, v[12:13], v[14:15] offset1:4
	ds_write_b64 v26, v[16:17] offset:64
	v_lshrrev_b32_e32 v26, 2, v60
	v_mul_u32_u24_e32 v26, 12, v26
	v_or_b32_e32 v26, v26, v38
	v_add_f32_e32 v18, v18, v33
	v_add_f32_e32 v19, v19, v34
	v_lshl_add_u32 v26, v26, 3, 0
	ds_write2_b64 v26, v[18:19], v[20:21] offset1:4
	ds_write_b64 v26, v[22:23] offset:64
	s_waitcnt lgkmcnt(0)
	s_barrier
	s_and_saveexec_b64 s[4:5], vcc
	s_cbranch_execz .LBB0_19
; %bb.18:
	ds_read2_b64 v[0:3], v59 offset1:108
	ds_read2_b64 v[8:11], v24 offset0:88 offset1:196
	ds_read2_b64 v[4:7], v25 offset0:48 offset1:156
	v_add_u32_e32 v12, 0x1000, v59
	v_add_u32_e32 v16, 0x1800, v59
	;; [unrolled: 1-line block ×3, first 2 shown]
	ds_read2_b64 v[12:15], v12 offset0:136 offset1:244
	ds_read2_b64 v[16:19], v16 offset0:96 offset1:204
	;; [unrolled: 1-line block ×3, first 2 shown]
	ds_read_b64 v[57:58], v59 offset:10368
.LBB0_19:
	s_or_b64 exec, exec, s[4:5]
	s_waitcnt lgkmcnt(0)
	s_barrier
	s_and_saveexec_b64 s[4:5], vcc
	s_cbranch_execz .LBB0_21
; %bb.20:
	s_movk_i32 s6, 0xab
	v_mul_lo_u16_sdwa v24, v48, s6 dst_sel:DWORD dst_unused:UNUSED_PAD src0_sel:BYTE_0 src1_sel:DWORD
	v_lshrrev_b16_e32 v53, 11, v24
	v_mul_lo_u16_e32 v24, 12, v53
	v_sub_u16_e32 v62, v48, v24
	v_mov_b32_e32 v24, 12
	v_mul_u32_u24_sdwa v24, v62, v24 dst_sel:DWORD dst_unused:UNUSED_PAD src0_sel:BYTE_0 src1_sel:DWORD
	v_lshlrev_b32_e32 v63, 3, v24
	global_load_dwordx4 v[24:27], v63, s[8:9] offset:160
	global_load_dwordx4 v[28:31], v63, s[8:9] offset:80
	;; [unrolled: 1-line block ×6, first 2 shown]
	s_mov_b32 s6, 0xbf788fa5
	s_mov_b32 s7, 0xbeb58ec6
	;; [unrolled: 1-line block ×6, first 2 shown]
	s_waitcnt vmcnt(5)
	v_mul_f32_e32 v63, v57, v27
	s_waitcnt vmcnt(4)
	v_mul_f32_e32 v64, v2, v29
	v_fmac_f32_e32 v64, v3, v28
	v_fmac_f32_e32 v63, v58, v26
	v_mul_f32_e32 v29, v3, v29
	v_mul_f32_e32 v27, v58, v27
	s_waitcnt vmcnt(2)
	v_mul_f32_e32 v69, v18, v37
	v_mul_f32_e32 v70, v4, v35
	s_waitcnt vmcnt(1)
	v_mul_f32_e32 v71, v6, v41
	v_mul_f32_e32 v41, v7, v41
	v_add_f32_e32 v3, v64, v63
	v_mul_f32_e32 v67, v10, v33
	v_mul_f32_e32 v68, v20, v39
	;; [unrolled: 1-line block ×4, first 2 shown]
	s_waitcnt vmcnt(0)
	v_mul_f32_e32 v72, v16, v47
	v_mul_f32_e32 v74, v12, v43
	;; [unrolled: 1-line block ×3, first 2 shown]
	v_fma_f32 v2, v2, v28, -v29
	v_fma_f32 v26, v57, v26, -v27
	v_fmac_f32_e32 v70, v5, v34
	v_fmac_f32_e32 v69, v19, v36
	v_fma_f32 v19, v6, v40, -v41
	v_mul_f32_e32 v5, 0x3df6dbef, v3
	v_mul_f32_e32 v6, 0xbf3f9e67, v3
	v_mul_f32_e32 v65, v8, v31
	v_mul_f32_e32 v31, v9, v31
	v_mul_f32_e32 v66, v22, v25
	v_mul_f32_e32 v33, v11, v33
	v_mul_f32_e32 v39, v21, v39
	v_mul_f32_e32 v47, v17, v47
	v_fmac_f32_e32 v67, v11, v32
	v_fmac_f32_e32 v68, v21, v38
	v_fma_f32 v21, v4, v34, -v35
	v_fmac_f32_e32 v72, v17, v46
	v_fma_f32 v17, v12, v42, -v43
	v_sub_f32_e32 v4, v2, v26
	v_mov_b32_e32 v11, v5
	v_mov_b32_e32 v12, v6
	v_mul_f32_e32 v25, v23, v25
	v_mul_f32_e32 v73, v14, v45
	;; [unrolled: 1-line block ×3, first 2 shown]
	v_fmac_f32_e32 v65, v9, v30
	v_fma_f32 v28, v8, v30, -v31
	v_fmac_f32_e32 v66, v23, v24
	v_fma_f32 v23, v10, v32, -v33
	v_fmac_f32_e32 v71, v7, v40
	v_mul_f32_e32 v7, 0xbe750f2a, v4
	v_mul_f32_e32 v8, 0xbf6f5d39, v4
	;; [unrolled: 1-line block ×4, first 2 shown]
	v_fmac_f32_e32 v6, 0xbf29c268, v4
	v_fmac_f32_e32 v5, 0xbf7e222b, v4
	;; [unrolled: 1-line block ×4, first 2 shown]
	v_sub_f32_e32 v4, v64, v63
	v_fma_f32 v22, v22, v24, -v25
	v_fmac_f32_e32 v73, v15, v44
	v_fmac_f32_e32 v74, v13, v42
	v_fma_f32 v24, v14, v44, -v45
	v_mov_b32_e32 v13, v7
	v_mov_b32_e32 v14, v8
	;; [unrolled: 1-line block ×4, first 2 shown]
	v_mul_f32_e32 v27, 0xbf7e222b, v4
	v_mul_f32_e32 v30, 0xbf29c268, v4
	v_fma_f32 v16, v16, v46, -v47
	v_fma_f32 v7, v3, s6, -v7
	v_fma_f32 v8, v3, s7, -v8
	v_fma_f32 v9, v3, s10, -v9
	v_fma_f32 v10, v3, s11, -v10
	v_fmac_f32_e32 v13, 0xbf788fa5, v3
	v_fmac_f32_e32 v14, 0xbeb58ec6, v3
	;; [unrolled: 1-line block ×4, first 2 shown]
	v_add_f32_e32 v3, v2, v26
	v_mov_b32_e32 v29, v27
	v_mov_b32_e32 v31, v30
	v_mul_f32_e32 v32, 0xbe750f2a, v4
	v_mul_f32_e32 v33, 0xbf6f5d39, v4
	;; [unrolled: 1-line block ×4, first 2 shown]
	v_add_f32_e32 v46, v65, v66
	v_fma_f32 v20, v20, v38, -v39
	v_fma_f32 v18, v18, v36, -v37
	v_fmac_f32_e32 v29, 0x3df6dbef, v3
	v_fmac_f32_e32 v31, 0xbf3f9e67, v3
	v_fma_f32 v30, v3, s13, -v30
	v_fma_f32 v27, v3, s12, -v27
	v_fma_f32 v35, v3, s6, -v32
	v_fmac_f32_e32 v32, 0xbf788fa5, v3
	v_fma_f32 v36, v3, s7, -v33
	v_fmac_f32_e32 v33, 0xbeb58ec6, v3
	v_fma_f32 v37, v3, s10, -v34
	;; [unrolled: 2-line block ×3, first 2 shown]
	v_fmac_f32_e32 v4, 0x3f62ad3f, v3
	v_add_f32_e32 v44, v1, v10
	v_mul_f32_e32 v10, 0xbf788fa5, v46
	v_add_f32_e32 v57, v67, v68
	v_add_f32_e32 v3, v1, v11
	;; [unrolled: 1-line block ×15, first 2 shown]
	v_sub_f32_e32 v47, v28, v22
	v_mov_b32_e32 v0, v10
	v_mul_f32_e32 v58, 0xbeb58ec6, v57
	v_add_f32_e32 v12, v1, v12
	v_add_f32_e32 v13, v1, v13
	;; [unrolled: 1-line block ×11, first 2 shown]
	v_fmac_f32_e32 v0, 0x3e750f2a, v47
	v_sub_f32_e32 v64, v23, v20
	v_mov_b32_e32 v1, v58
	v_add_f32_e32 v75, v70, v69
	v_add_f32_e32 v0, v0, v3
	v_fmac_f32_e32 v1, 0xbf6f5d39, v64
	v_mul_f32_e32 v76, 0x3f62ad3f, v75
	v_add_f32_e32 v0, v1, v0
	v_sub_f32_e32 v77, v21, v18
	v_mov_b32_e32 v1, v76
	v_add_f32_e32 v78, v71, v72
	v_fmac_f32_e32 v1, 0xbeedf032, v77
	v_mul_f32_e32 v79, 0x3f116cb1, v78
	v_add_f32_e32 v0, v1, v0
	v_sub_f32_e32 v80, v19, v16
	v_mov_b32_e32 v1, v79
	v_sub_f32_e32 v82, v65, v66
	v_fmac_f32_e32 v1, 0x3f52af12, v80
	v_mul_f32_e32 v83, 0xbe750f2a, v82
	v_add_f32_e32 v0, v1, v0
	v_add_f32_e32 v81, v28, v22
	v_mov_b32_e32 v1, v83
	v_fmac_f32_e32 v1, 0xbf788fa5, v81
	v_sub_f32_e32 v85, v67, v68
	v_add_f32_e32 v1, v1, v11
	v_mul_f32_e32 v11, 0x3f6f5d39, v85
	v_add_f32_e32 v84, v23, v20
	v_mov_b32_e32 v2, v11
	v_sub_f32_e32 v87, v70, v69
	v_fmac_f32_e32 v2, 0xbeb58ec6, v84
	v_mul_f32_e32 v88, 0x3eedf032, v87
	v_add_f32_e32 v1, v2, v1
	v_add_f32_e32 v86, v21, v18
	v_mov_b32_e32 v2, v88
	v_sub_f32_e32 v90, v71, v72
	v_fmac_f32_e32 v2, 0x3f62ad3f, v86
	v_mul_f32_e32 v91, 0xbf52af12, v90
	v_add_f32_e32 v1, v2, v1
	v_add_f32_e32 v89, v19, v16
	v_mov_b32_e32 v2, v91
	v_add_f32_e32 v92, v74, v73
	v_fmac_f32_e32 v2, 0x3f116cb1, v89
	v_mul_f32_e32 v93, 0xbf3f9e67, v92
	v_add_f32_e32 v2, v2, v1
	v_sub_f32_e32 v94, v17, v24
	v_mov_b32_e32 v1, v93
	v_sub_f32_e32 v96, v74, v73
	v_fmac_f32_e32 v1, 0x3f29c268, v94
	v_mul_f32_e32 v97, 0xbf29c268, v96
	v_add_f32_e32 v1, v1, v0
	v_add_f32_e32 v95, v17, v24
	v_mov_b32_e32 v0, v97
	v_fmac_f32_e32 v0, 0xbf3f9e67, v95
	v_mul_f32_e32 v7, 0x3df6dbef, v46
	v_add_f32_e32 v0, v0, v2
	v_mov_b32_e32 v2, v7
	v_mul_f32_e32 v8, 0x3f116cb1, v57
	v_fmac_f32_e32 v2, 0xbf7e222b, v47
	v_mov_b32_e32 v3, v8
	v_add_f32_e32 v2, v2, v12
	v_fmac_f32_e32 v3, 0x3f52af12, v64
	v_mul_f32_e32 v9, 0xbf788fa5, v75
	v_add_f32_e32 v2, v3, v2
	v_mov_b32_e32 v3, v9
	v_fmac_f32_e32 v3, 0xbe750f2a, v77
	v_mul_f32_e32 v12, 0x3f62ad3f, v78
	v_add_f32_e32 v2, v3, v2
	v_mov_b32_e32 v3, v12
	;; [unrolled: 4-line block ×3, first 2 shown]
	v_fmac_f32_e32 v3, 0x3df6dbef, v81
	v_add_f32_e32 v3, v3, v29
	v_mul_f32_e32 v29, 0xbf52af12, v85
	v_mov_b32_e32 v4, v29
	v_fmac_f32_e32 v4, 0x3f116cb1, v84
	v_mul_f32_e32 v99, 0x3e750f2a, v87
	v_add_f32_e32 v3, v4, v3
	v_mov_b32_e32 v4, v99
	v_fmac_f32_e32 v7, 0x3f7e222b, v47
	v_fmac_f32_e32 v4, 0xbf788fa5, v86
	v_mul_f32_e32 v100, 0x3eedf032, v90
	v_add_f32_e32 v6, v7, v6
	v_fmac_f32_e32 v8, 0xbf52af12, v64
	v_fma_f32 v7, v81, s12, -v98
	v_add_f32_e32 v3, v4, v3
	v_mov_b32_e32 v4, v100
	v_add_f32_e32 v6, v8, v6
	v_fmac_f32_e32 v9, 0x3e750f2a, v77
	v_add_f32_e32 v7, v7, v30
	v_fma_f32 v8, v84, s10, -v29
	v_fmac_f32_e32 v4, 0x3f62ad3f, v89
	v_mul_f32_e32 v101, 0xbeb58ec6, v92
	v_add_f32_e32 v6, v9, v6
	v_fmac_f32_e32 v12, 0x3eedf032, v80
	v_add_f32_e32 v7, v8, v7
	v_fma_f32 v8, v86, s6, -v99
	v_add_f32_e32 v4, v4, v3
	v_mov_b32_e32 v3, v101
	v_mul_f32_e32 v102, 0xbf6f5d39, v96
	v_add_f32_e32 v6, v12, v6
	v_add_f32_e32 v7, v8, v7
	v_fma_f32 v8, v89, s11, -v100
	v_fmac_f32_e32 v101, 0xbf6f5d39, v94
	v_add_f32_e32 v8, v8, v7
	v_add_f32_e32 v7, v101, v6
	v_fma_f32 v6, v95, s7, -v102
	v_mul_f32_e32 v29, 0x3f29c268, v47
	v_add_f32_e32 v6, v6, v8
	v_mov_b32_e32 v8, v29
	v_mul_f32_e32 v30, 0x3eedf032, v64
	v_fmac_f32_e32 v8, 0xbf3f9e67, v46
	v_mov_b32_e32 v9, v30
	v_add_f32_e32 v8, v8, v14
	v_fmac_f32_e32 v9, 0x3f62ad3f, v57
	v_mul_f32_e32 v98, 0xbf7e222b, v77
	v_fmac_f32_e32 v3, 0x3f6f5d39, v94
	v_add_f32_e32 v8, v9, v8
	v_mov_b32_e32 v9, v98
	v_add_f32_e32 v3, v3, v2
	v_mov_b32_e32 v2, v102
	v_fmac_f32_e32 v9, 0x3df6dbef, v75
	v_mul_f32_e32 v99, 0x3e750f2a, v80
	v_fmac_f32_e32 v2, 0xbeb58ec6, v95
	v_mul_f32_e32 v103, 0x3eedf032, v47
	v_add_f32_e32 v8, v9, v8
	v_mov_b32_e32 v9, v99
	v_add_f32_e32 v2, v2, v4
	v_mov_b32_e32 v4, v103
	v_mul_f32_e32 v104, 0xbf29c268, v64
	v_fmac_f32_e32 v9, 0xbf788fa5, v78
	v_mul_f32_e32 v100, 0x3f29c268, v82
	v_fmac_f32_e32 v4, 0x3f62ad3f, v46
	v_mov_b32_e32 v5, v104
	v_add_f32_e32 v8, v9, v8
	v_fma_f32 v9, v81, s13, -v100
	v_add_f32_e32 v4, v4, v13
	v_fmac_f32_e32 v5, 0xbf3f9e67, v57
	v_mul_f32_e32 v105, 0x3f52af12, v77
	v_add_f32_e32 v9, v9, v35
	v_mul_f32_e32 v35, 0x3eedf032, v85
	v_add_f32_e32 v4, v5, v4
	v_mov_b32_e32 v5, v105
	v_fma_f32 v12, v84, s11, -v35
	v_mul_f32_e32 v101, 0xbf7e222b, v87
	v_fmac_f32_e32 v5, 0x3f116cb1, v75
	v_mul_f32_e32 v106, 0xbf6f5d39, v80
	v_add_f32_e32 v9, v12, v9
	v_fma_f32 v12, v86, s12, -v101
	v_mul_f32_e32 v102, 0x3e750f2a, v90
	v_add_f32_e32 v4, v5, v4
	v_mov_b32_e32 v5, v106
	v_add_f32_e32 v9, v12, v9
	v_fma_f32 v12, v89, s6, -v102
	v_mul_f32_e32 v112, 0x3f52af12, v94
	v_fmac_f32_e32 v5, 0xbeb58ec6, v78
	v_mul_f32_e32 v107, 0x3eedf032, v82
	v_add_f32_e32 v12, v12, v9
	v_mov_b32_e32 v9, v112
	v_add_f32_e32 v4, v5, v4
	v_fma_f32 v5, v81, s11, -v107
	v_fmac_f32_e32 v9, 0x3f116cb1, v92
	v_mul_f32_e32 v113, 0x3f52af12, v96
	v_add_f32_e32 v5, v5, v31
	v_mul_f32_e32 v31, 0xbf29c268, v85
	v_add_f32_e32 v9, v9, v8
	v_fma_f32 v8, v95, s10, -v113
	v_fmac_f32_e32 v10, 0xbe750f2a, v47
	v_fma_f32 v13, v84, s13, -v31
	v_mul_f32_e32 v108, 0x3f52af12, v87
	v_add_f32_e32 v8, v8, v12
	v_add_f32_e32 v10, v10, v36
	v_fmac_f32_e32 v58, 0x3f6f5d39, v64
	v_fma_f32 v12, v81, s6, -v83
	v_add_f32_e32 v28, v40, v28
	v_add_f32_e32 v5, v13, v5
	v_fma_f32 v13, v86, s10, -v108
	v_mul_f32_e32 v109, 0xbf6f5d39, v90
	v_add_f32_e32 v10, v58, v10
	v_fmac_f32_e32 v76, 0x3eedf032, v77
	v_add_f32_e32 v12, v12, v27
	v_fma_f32 v11, v84, s7, -v11
	v_add_f32_e32 v23, v28, v23
	v_add_f32_e32 v5, v13, v5
	v_fma_f32 v13, v89, s7, -v109
	v_mul_f32_e32 v110, 0x3f7e222b, v94
	v_add_f32_e32 v10, v76, v10
	v_fmac_f32_e32 v79, 0xbf52af12, v80
	v_add_f32_e32 v11, v11, v12
	v_fma_f32 v12, v86, s11, -v88
	v_add_f32_e32 v21, v23, v21
	v_add_f32_e32 v13, v13, v5
	v_mov_b32_e32 v5, v110
	v_add_f32_e32 v10, v79, v10
	v_add_f32_e32 v11, v12, v11
	v_fma_f32 v12, v89, s10, -v91
	v_fmac_f32_e32 v93, 0xbf29c268, v94
	v_add_f32_e32 v19, v21, v19
	v_fmac_f32_e32 v5, 0x3df6dbef, v92
	v_mul_f32_e32 v111, 0x3f7e222b, v96
	v_add_f32_e32 v12, v12, v11
	v_add_f32_e32 v11, v93, v10
	v_fma_f32 v10, v95, s13, -v97
	v_mul_f32_e32 v27, 0xbf6f5d39, v47
	v_add_f32_e32 v17, v19, v17
	v_add_f32_e32 v5, v5, v4
	v_fma_f32 v4, v95, s12, -v111
	v_add_f32_e32 v10, v10, v12
	v_mov_b32_e32 v12, v27
	v_mul_f32_e32 v36, 0xbe750f2a, v64
	v_add_f32_e32 v17, v17, v24
	v_add_f32_e32 v4, v4, v13
	v_fmac_f32_e32 v12, 0xbeb58ec6, v46
	v_mov_b32_e32 v13, v36
	v_add_f32_e32 v16, v17, v16
	v_add_f32_e32 v12, v12, v15
	v_fmac_f32_e32 v13, 0xbf788fa5, v57
	v_mul_f32_e32 v58, 0x3f29c268, v77
	v_add_f32_e32 v16, v16, v18
	v_fma_f32 v18, v46, s11, -v103
	v_add_f32_e32 v12, v13, v12
	v_mov_b32_e32 v13, v58
	v_add_f32_e32 v18, v18, v41
	v_fma_f32 v19, v57, s13, -v104
	v_fmac_f32_e32 v13, 0xbf3f9e67, v75
	v_mul_f32_e32 v76, 0x3f7e222b, v80
	v_add_f32_e32 v18, v19, v18
	v_fma_f32 v19, v75, s10, -v105
	v_add_f32_e32 v12, v13, v12
	v_mov_b32_e32 v13, v76
	v_add_f32_e32 v18, v19, v18
	v_fma_f32 v19, v78, s7, -v106
	v_fmac_f32_e32 v107, 0x3f62ad3f, v81
	v_fmac_f32_e32 v13, 0x3df6dbef, v78
	v_mul_f32_e32 v79, 0xbf6f5d39, v82
	v_add_f32_e32 v18, v19, v18
	v_add_f32_e32 v19, v107, v32
	v_fmac_f32_e32 v31, 0xbf3f9e67, v84
	v_add_f32_e32 v12, v13, v12
	v_fma_f32 v13, v81, s7, -v79
	v_add_f32_e32 v19, v31, v19
	v_fmac_f32_e32 v108, 0x3f116cb1, v86
	v_add_f32_e32 v13, v13, v37
	v_mul_f32_e32 v37, 0xbe750f2a, v85
	v_add_f32_e32 v19, v108, v19
	v_fmac_f32_e32 v109, 0xbeb58ec6, v89
	v_fma_f32 v14, v84, s6, -v37
	v_mul_f32_e32 v83, 0x3f29c268, v87
	v_add_f32_e32 v16, v16, v20
	v_add_f32_e32 v20, v109, v19
	v_fma_f32 v19, v92, s12, -v110
	v_fmac_f32_e32 v111, 0x3df6dbef, v95
	v_add_f32_e32 v13, v14, v13
	v_fma_f32 v14, v86, s13, -v83
	v_mul_f32_e32 v88, 0x3f7e222b, v90
	v_add_f32_e32 v19, v19, v18
	v_add_f32_e32 v18, v111, v20
	v_fma_f32 v20, v46, s13, -v29
	v_add_f32_e32 v13, v14, v13
	v_fma_f32 v14, v89, s12, -v88
	v_mul_f32_e32 v91, 0x3eedf032, v94
	v_add_f32_e32 v20, v20, v42
	v_fma_f32 v21, v57, s11, -v30
	v_add_f32_e32 v14, v14, v13
	v_mov_b32_e32 v13, v91
	v_add_f32_e32 v20, v21, v20
	v_fma_f32 v21, v75, s12, -v98
	v_fmac_f32_e32 v13, 0x3f62ad3f, v92
	v_mul_f32_e32 v93, 0x3eedf032, v96
	v_add_f32_e32 v20, v21, v20
	v_fma_f32 v21, v78, s6, -v99
	v_fmac_f32_e32 v100, 0xbf3f9e67, v81
	v_add_f32_e32 v13, v13, v12
	v_fma_f32 v12, v95, s11, -v93
	v_mul_f32_e32 v47, 0xbf52af12, v47
	v_add_f32_e32 v20, v21, v20
	v_add_f32_e32 v21, v100, v33
	v_fmac_f32_e32 v35, 0x3f62ad3f, v84
	v_add_f32_e32 v12, v12, v14
	v_mov_b32_e32 v14, v47
	v_add_f32_e32 v21, v35, v21
	v_fmac_f32_e32 v101, 0x3df6dbef, v86
	v_fmac_f32_e32 v14, 0x3f116cb1, v46
	v_add_f32_e32 v21, v101, v21
	v_fmac_f32_e32 v102, 0xbf788fa5, v89
	v_add_f32_e32 v14, v14, v25
	v_mul_f32_e32 v25, 0xbf7e222b, v64
	v_add_f32_e32 v16, v16, v22
	v_add_f32_e32 v22, v102, v21
	v_fma_f32 v21, v92, s10, -v112
	v_fmac_f32_e32 v113, 0x3f116cb1, v95
	v_mov_b32_e32 v15, v25
	v_add_f32_e32 v21, v21, v20
	v_add_f32_e32 v20, v113, v22
	v_fma_f32 v22, v46, s7, -v27
	v_fmac_f32_e32 v15, 0x3df6dbef, v57
	v_mul_f32_e32 v64, 0xbf6f5d39, v77
	v_add_f32_e32 v22, v22, v43
	v_fma_f32 v23, v57, s6, -v36
	v_add_f32_e32 v14, v15, v14
	v_mov_b32_e32 v15, v64
	v_add_f32_e32 v22, v23, v22
	v_fma_f32 v23, v75, s13, -v58
	v_fmac_f32_e32 v15, 0xbeb58ec6, v75
	v_mul_f32_e32 v77, 0xbf29c268, v80
	v_add_f32_e32 v22, v23, v22
	v_fma_f32 v23, v78, s12, -v76
	v_fmac_f32_e32 v79, 0xbeb58ec6, v81
	v_add_f32_e32 v14, v15, v14
	v_mov_b32_e32 v15, v77
	v_add_f32_e32 v22, v23, v22
	v_add_f32_e32 v23, v79, v34
	v_fmac_f32_e32 v37, 0xbf788fa5, v84
	v_fmac_f32_e32 v15, 0xbf3f9e67, v78
	v_mul_f32_e32 v80, 0xbf52af12, v82
	v_add_f32_e32 v23, v37, v23
	v_fmac_f32_e32 v83, 0xbf3f9e67, v86
	v_add_f32_e32 v14, v15, v14
	v_fma_f32 v15, v81, s10, -v80
	v_add_f32_e32 v39, v39, v65
	v_add_f32_e32 v23, v83, v23
	v_fmac_f32_e32 v88, 0x3df6dbef, v89
	v_add_f32_e32 v15, v15, v38
	v_mul_f32_e32 v38, 0xbf7e222b, v85
	v_add_f32_e32 v39, v39, v67
	v_add_f32_e32 v24, v88, v23
	v_fma_f32 v23, v92, s11, -v91
	v_fmac_f32_e32 v93, 0x3f62ad3f, v95
	v_fma_f32 v82, v84, s12, -v38
	v_add_f32_e32 v39, v39, v70
	v_add_f32_e32 v23, v23, v22
	;; [unrolled: 1-line block ×3, first 2 shown]
	v_fma_f32 v24, v46, s10, -v47
	v_add_f32_e32 v15, v82, v15
	v_mul_f32_e32 v82, 0xbf6f5d39, v87
	v_add_f32_e32 v39, v39, v71
	v_add_f32_e32 v24, v24, v44
	v_fma_f32 v25, v57, s12, -v25
	v_fma_f32 v85, v86, s7, -v82
	v_add_f32_e32 v39, v39, v74
	v_add_f32_e32 v24, v25, v24
	v_fma_f32 v25, v75, s7, -v64
	v_add_f32_e32 v15, v85, v15
	v_mul_f32_e32 v85, 0xbf29c268, v90
	v_mul_f32_e32 v90, 0xbe750f2a, v94
	v_add_f32_e32 v39, v39, v73
	v_add_f32_e32 v24, v25, v24
	v_fma_f32 v25, v78, s13, -v77
	v_fma_f32 v87, v89, s13, -v85
	v_add_f32_e32 v39, v39, v72
	v_add_f32_e32 v24, v25, v24
	v_fma_f32 v25, v92, s6, -v90
	v_fmac_f32_e32 v80, 0x3f116cb1, v81
	v_add_f32_e32 v87, v87, v15
	v_mov_b32_e32 v15, v90
	v_add_f32_e32 v39, v39, v69
	v_add_f32_e32 v25, v25, v24
	;; [unrolled: 1-line block ×3, first 2 shown]
	v_fmac_f32_e32 v38, 0x3df6dbef, v84
	v_fmac_f32_e32 v15, 0xbf788fa5, v92
	v_mul_f32_e32 v94, 0xbe750f2a, v96
	v_add_f32_e32 v39, v39, v68
	v_add_f32_e32 v24, v38, v24
	v_fmac_f32_e32 v82, 0xbeb58ec6, v86
	v_mov_b32_e32 v27, 3
	v_add_f32_e32 v15, v15, v14
	v_fma_f32 v14, v95, s6, -v94
	v_add_f32_e32 v39, v39, v66
	v_add_f32_e32 v16, v16, v26
	;; [unrolled: 1-line block ×3, first 2 shown]
	v_fmac_f32_e32 v85, 0xbf3f9e67, v89
	v_mul_u32_u24_e32 v26, 0x4e0, v53
	v_lshlrev_b32_sdwa v27, v27, v62 dst_sel:DWORD dst_unused:UNUSED_PAD src0_sel:DWORD src1_sel:BYTE_0
	v_add_f32_e32 v14, v14, v87
	v_add_f32_e32 v17, v39, v63
	;; [unrolled: 1-line block ×3, first 2 shown]
	v_fmac_f32_e32 v94, 0xbf788fa5, v95
	v_add3_u32 v26, 0, v26, v27
	v_add_f32_e32 v24, v94, v24
	ds_write2_b64 v26, v[16:17], v[14:15] offset1:12
	ds_write2_b64 v26, v[12:13], v[10:11] offset0:24 offset1:36
	ds_write2_b64 v26, v[8:9], v[6:7] offset0:48 offset1:60
	;; [unrolled: 1-line block ×5, first 2 shown]
	ds_write_b64 v26, v[24:25] offset:1152
.LBB0_21:
	s_or_b64 exec, exec, s[4:5]
	v_mov_b32_e32 v53, 0
	v_lshlrev_b64 v[0:1], 3, v[52:53]
	v_mov_b32_e32 v42, s9
	v_add_co_u32_e32 v40, vcc, s8, v0
	v_addc_co_u32_e32 v41, vcc, v42, v1, vcc
	v_subrev_u32_e32 v4, 39, v48
	v_cmp_gt_u32_e32 vcc, 39, v48
	v_cndmask_b32_e32 v43, v4, v49, vcc
	v_lshlrev_b32_e32 v52, 1, v43
	v_lshrrev_b16_e32 v8, 2, v61
	v_lshrrev_b16_e32 v9, 2, v60
	v_lshlrev_b64 v[4:5], 3, v[52:53]
	v_mul_u32_u24_e32 v8, 0xd21, v8
	v_mul_u32_u24_e32 v9, 0xd21, v9
	v_lshrrev_b32_e32 v44, 17, v8
	v_lshrrev_b32_e32 v12, 17, v9
	s_waitcnt lgkmcnt(0)
	s_barrier
	global_load_dwordx4 v[0:3], v[40:41], off offset:1232
	v_add_co_u32_e32 v4, vcc, s8, v4
	v_mul_lo_u16_e32 v8, 0x9c, v44
	v_mul_lo_u16_e32 v12, 0x9c, v12
	v_addc_co_u32_e32 v5, vcc, v42, v5, vcc
	global_load_dwordx4 v[4:7], v[4:5], off offset:1232
	v_sub_u16_e32 v45, v61, v8
	v_sub_u16_e32 v46, v60, v12
	v_lshlrev_b32_e32 v8, 4, v45
	v_lshlrev_b32_e32 v12, 4, v46
	global_load_dwordx4 v[8:11], v8, s[8:9] offset:1232
	ds_read2_b64 v[16:19], v59 offset1:117
	global_load_dwordx4 v[12:15], v12, s[8:9] offset:1232
	v_add_u32_e32 v47, 0xc00, v59
	v_add_u32_e32 v49, 0x1c00, v59
	;; [unrolled: 1-line block ×5, first 2 shown]
	ds_read2_b64 v[20:23], v47 offset0:84 offset1:201
	ds_read2_b64 v[24:27], v49 offset0:40 offset1:157
	;; [unrolled: 1-line block ×5, first 2 shown]
	s_waitcnt vmcnt(0) lgkmcnt(0)
	s_barrier
	v_cmp_lt_u32_e32 vcc, 38, v48
	v_mul_f32_e32 v57, v1, v21
	v_mul_f32_e32 v1, v1, v20
	;; [unrolled: 1-line block ×4, first 2 shown]
	v_fmac_f32_e32 v1, v0, v21
	v_fmac_f32_e32 v3, v2, v25
	v_fma_f32 v20, v0, v20, -v57
	v_fma_f32 v21, v2, v24, -v61
	v_mul_f32_e32 v0, v5, v23
	v_mul_f32_e32 v24, v5, v22
	;; [unrolled: 1-line block ×3, first 2 shown]
	v_add_f32_e32 v65, v17, v1
	v_add_f32_e32 v66, v1, v3
	v_mul_f32_e32 v25, v7, v26
	v_mul_f32_e32 v5, v9, v33
	;; [unrolled: 1-line block ×6, first 2 shown]
	v_add_f32_e32 v15, v20, v21
	v_sub_f32_e32 v64, v1, v3
	v_fma_f32 v22, v4, v22, -v0
	v_fmac_f32_e32 v24, v4, v23
	v_fma_f32 v23, v6, v26, -v2
	v_add_f32_e32 v1, v65, v3
	v_fma_f32 v3, -0.5, v66, v17
	v_mul_f32_e32 v57, v9, v32
	v_fmac_f32_e32 v25, v6, v27
	v_fma_f32 v26, v8, v32, -v5
	v_fma_f32 v27, v36, v10, -v7
	v_fma_f32 v2, -0.5, v15, v16
	v_sub_f32_e32 v6, v20, v21
	v_mov_b32_e32 v5, v3
	v_add_f32_e32 v7, v22, v23
	v_mul_f32_e32 v9, v35, v13
	v_mul_f32_e32 v62, v34, v13
	v_add_f32_e32 v13, v16, v20
	v_fmac_f32_e32 v57, v8, v33
	v_fmac_f32_e32 v61, v37, v10
	v_mov_b32_e32 v4, v2
	v_fmac_f32_e32 v5, 0xbf5db3d7, v6
	v_fmac_f32_e32 v3, 0x3f5db3d7, v6
	v_add_f32_e32 v6, v18, v22
	v_fma_f32 v18, -0.5, v7, v18
	v_fma_f32 v32, v34, v12, -v9
	v_add_f32_e32 v0, v13, v21
	v_fmac_f32_e32 v4, 0x3f5db3d7, v64
	v_sub_f32_e32 v7, v24, v25
	v_mov_b32_e32 v8, v18
	v_add_f32_e32 v9, v24, v25
	v_add_f32_e32 v13, v57, v61
	v_fma_f32 v33, v38, v14, -v11
	v_fmac_f32_e32 v2, 0xbf5db3d7, v64
	v_fmac_f32_e32 v8, 0x3f5db3d7, v7
	v_fmac_f32_e32 v18, 0xbf5db3d7, v7
	v_add_f32_e32 v7, v19, v24
	v_fmac_f32_e32 v19, -0.5, v9
	v_add_f32_e32 v11, v26, v27
	v_fma_f32 v13, -0.5, v13, v29
	ds_write2_b64 v59, v[0:1], v[4:5] offset1:156
	ds_write_b64 v59, v[2:3] offset:2496
	v_mov_b32_e32 v0, 0xea0
	v_fmac_f32_e32 v62, v35, v12
	v_sub_f32_e32 v10, v22, v23
	v_mov_b32_e32 v9, v19
	v_fma_f32 v12, -0.5, v11, v28
	v_sub_f32_e32 v16, v26, v27
	v_mov_b32_e32 v15, v13
	v_add_f32_e32 v17, v32, v33
	v_cndmask_b32_e32 v0, 0, v0, vcc
	v_lshlrev_b32_e32 v1, 3, v43
	v_fmac_f32_e32 v63, v39, v14
	v_add_f32_e32 v6, v6, v23
	v_add_f32_e32 v7, v7, v25
	v_fmac_f32_e32 v9, 0xbf5db3d7, v10
	v_sub_f32_e32 v11, v57, v61
	v_mov_b32_e32 v14, v12
	v_fmac_f32_e32 v15, 0xbf5db3d7, v16
	v_fmac_f32_e32 v13, 0x3f5db3d7, v16
	v_add_f32_e32 v16, v30, v32
	v_fma_f32 v30, -0.5, v17, v30
	v_add3_u32 v0, 0, v0, v1
	v_fmac_f32_e32 v19, 0x3f5db3d7, v10
	v_add_f32_e32 v10, v28, v26
	v_fmac_f32_e32 v14, 0x3f5db3d7, v11
	v_fmac_f32_e32 v12, 0xbf5db3d7, v11
	v_add_f32_e32 v11, v29, v57
	v_sub_f32_e32 v17, v62, v63
	v_mov_b32_e32 v20, v30
	v_add_f32_e32 v21, v62, v63
	ds_write2_b64 v0, v[6:7], v[8:9] offset1:156
	ds_write_b64 v0, v[18:19] offset:2496
	v_mul_u32_u24_e32 v0, 0xea0, v44
	v_lshlrev_b32_e32 v1, 3, v45
	v_add_f32_e32 v10, v10, v27
	v_add_f32_e32 v11, v11, v61
	v_fmac_f32_e32 v20, 0x3f5db3d7, v17
	v_fmac_f32_e32 v30, 0xbf5db3d7, v17
	v_add_f32_e32 v17, v31, v62
	v_fmac_f32_e32 v31, -0.5, v21
	v_add3_u32 v0, 0, v0, v1
	v_sub_f32_e32 v22, v32, v33
	v_mov_b32_e32 v21, v31
	ds_write2_b64 v0, v[10:11], v[14:15] offset1:156
	ds_write_b64 v0, v[12:13] offset:2496
	v_lshl_add_u32 v0, v46, 3, 0
	v_add_f32_e32 v16, v16, v33
	v_add_f32_e32 v17, v17, v63
	v_fmac_f32_e32 v21, 0xbf5db3d7, v22
	v_add_u32_e32 v1, 0x1c00, v0
	v_mov_b32_e32 v57, v53
	v_fmac_f32_e32 v31, 0x3f5db3d7, v22
	ds_write2_b64 v1, v[16:17], v[20:21] offset0:40 offset1:196
	ds_write_b64 v0, v[30:31] offset:9984
	s_waitcnt lgkmcnt(0)
	s_barrier
	global_load_dwordx4 v[0:3], v[40:41], off offset:3728
	v_lshlrev_b64 v[4:5], 3, v[56:57]
	v_mov_b32_e32 v56, v53
	v_add_co_u32_e32 v4, vcc, s8, v4
	v_lshlrev_b64 v[8:9], 3, v[55:56]
	v_addc_co_u32_e32 v5, vcc, v42, v5, vcc
	v_mov_b32_e32 v55, v53
	global_load_dwordx4 v[4:7], v[4:5], off offset:3728
	v_add_co_u32_e32 v8, vcc, s8, v8
	v_lshlrev_b64 v[12:13], 3, v[54:55]
	v_addc_co_u32_e32 v9, vcc, v42, v9, vcc
	global_load_dwordx4 v[8:11], v[8:9], off offset:3728
	v_add_co_u32_e32 v12, vcc, s8, v12
	v_addc_co_u32_e32 v13, vcc, v42, v13, vcc
	global_load_dwordx4 v[12:15], v[12:13], off offset:3728
	ds_read2_b64 v[16:19], v59 offset1:117
	ds_read2_b64 v[20:23], v47 offset0:84 offset1:201
	ds_read2_b64 v[24:27], v49 offset0:40 offset1:157
	;; [unrolled: 1-line block ×5, first 2 shown]
	s_waitcnt vmcnt(0) lgkmcnt(0)
	s_barrier
	v_mul_f32_e32 v40, v1, v21
	v_fma_f32 v40, v0, v20, -v40
	v_mul_f32_e32 v20, v1, v20
	v_fmac_f32_e32 v20, v0, v21
	v_mul_f32_e32 v0, v3, v25
	v_fma_f32 v21, v2, v24, -v0
	v_mul_f32_e32 v3, v3, v24
	v_add_f32_e32 v1, v40, v21
	v_fmac_f32_e32 v3, v2, v25
	v_mul_f32_e32 v0, v5, v23
	v_fma_f32 v24, v4, v22, -v0
	v_mul_f32_e32 v22, v5, v22
	v_mul_f32_e32 v0, v7, v27
	;; [unrolled: 1-line block ×3, first 2 shown]
	v_fma_f32 v2, -0.5, v1, v16
	v_fmac_f32_e32 v22, v4, v23
	v_fma_f32 v23, v6, v26, -v0
	v_fmac_f32_e32 v25, v6, v27
	v_mul_f32_e32 v0, v9, v33
	v_mul_f32_e32 v27, v9, v32
	v_sub_f32_e32 v1, v20, v3
	v_mov_b32_e32 v4, v2
	v_fma_f32 v26, v8, v32, -v0
	v_fmac_f32_e32 v27, v8, v33
	v_mul_f32_e32 v0, v37, v11
	v_mul_f32_e32 v33, v36, v11
	v_fmac_f32_e32 v4, 0x3f5db3d7, v1
	v_fmac_f32_e32 v2, 0xbf5db3d7, v1
	v_add_f32_e32 v1, v17, v20
	v_fma_f32 v32, v36, v10, -v0
	v_fmac_f32_e32 v33, v37, v10
	v_mul_f32_e32 v0, v35, v13
	v_add_f32_e32 v1, v1, v3
	v_add_f32_e32 v3, v20, v3
	v_fma_f32 v36, v34, v12, -v0
	v_mul_f32_e32 v34, v34, v13
	v_mul_f32_e32 v0, v39, v15
	v_fma_f32 v3, -0.5, v3, v17
	v_add_f32_e32 v13, v27, v33
	v_fmac_f32_e32 v34, v35, v12
	v_fma_f32 v35, v38, v14, -v0
	v_sub_f32_e32 v6, v40, v21
	v_mov_b32_e32 v5, v3
	v_add_f32_e32 v7, v24, v23
	v_fma_f32 v13, -0.5, v13, v29
	v_mul_f32_e32 v37, v38, v15
	v_add_f32_e32 v0, v16, v40
	v_fmac_f32_e32 v5, 0xbf5db3d7, v6
	v_fmac_f32_e32 v3, 0x3f5db3d7, v6
	v_add_f32_e32 v6, v18, v24
	v_fma_f32 v18, -0.5, v7, v18
	v_sub_f32_e32 v16, v26, v32
	v_mov_b32_e32 v15, v13
	v_add_f32_e32 v17, v36, v35
	v_fmac_f32_e32 v37, v39, v14
	v_sub_f32_e32 v7, v22, v25
	v_mov_b32_e32 v8, v18
	v_add_f32_e32 v9, v22, v25
	v_add_f32_e32 v11, v26, v32
	v_fmac_f32_e32 v15, 0xbf5db3d7, v16
	v_fmac_f32_e32 v13, 0x3f5db3d7, v16
	v_add_f32_e32 v16, v30, v36
	v_fma_f32 v30, -0.5, v17, v30
	v_add_f32_e32 v0, v0, v21
	v_fmac_f32_e32 v8, 0x3f5db3d7, v7
	v_fmac_f32_e32 v18, 0xbf5db3d7, v7
	v_add_f32_e32 v7, v19, v22
	v_fmac_f32_e32 v19, -0.5, v9
	v_fma_f32 v12, -0.5, v11, v28
	v_sub_f32_e32 v17, v34, v37
	v_mov_b32_e32 v20, v30
	v_add_f32_e32 v21, v34, v37
	v_sub_f32_e32 v10, v24, v23
	v_mov_b32_e32 v9, v19
	v_sub_f32_e32 v11, v27, v33
	v_mov_b32_e32 v14, v12
	v_fmac_f32_e32 v20, 0x3f5db3d7, v17
	v_fmac_f32_e32 v30, 0xbf5db3d7, v17
	v_add_f32_e32 v17, v31, v34
	v_fmac_f32_e32 v31, -0.5, v21
	v_add_f32_e32 v6, v6, v23
	v_add_f32_e32 v7, v7, v25
	v_fmac_f32_e32 v9, 0xbf5db3d7, v10
	v_fmac_f32_e32 v19, 0x3f5db3d7, v10
	v_add_f32_e32 v10, v28, v26
	v_fmac_f32_e32 v14, 0x3f5db3d7, v11
	v_fmac_f32_e32 v12, 0xbf5db3d7, v11
	v_add_f32_e32 v11, v29, v27
	v_sub_f32_e32 v22, v36, v35
	v_mov_b32_e32 v21, v31
	v_add_f32_e32 v10, v10, v32
	v_add_f32_e32 v11, v11, v33
	;; [unrolled: 1-line block ×4, first 2 shown]
	v_fmac_f32_e32 v21, 0xbf5db3d7, v22
	v_fmac_f32_e32 v31, 0x3f5db3d7, v22
	ds_write2_b64 v59, v[0:1], v[6:7] offset1:117
	ds_write2_b64 v47, v[4:5], v[8:9] offset0:84 offset1:201
	ds_write2_b64 v49, v[2:3], v[18:19] offset0:40 offset1:157
	;; [unrolled: 1-line block ×5, first 2 shown]
	s_waitcnt lgkmcnt(0)
	s_barrier
	s_and_saveexec_b64 s[4:5], s[0:1]
	s_cbranch_execz .LBB0_23
; %bb.22:
	v_lshl_add_u32 v6, v48, 3, 0
	v_mov_b32_e32 v49, v53
	ds_read2_b64 v[0:3], v6 offset1:117
	v_mov_b32_e32 v4, s3
	v_add_co_u32_e32 v7, vcc, s2, v50
	v_addc_co_u32_e32 v8, vcc, v4, v51, vcc
	v_lshlrev_b64 v[4:5], 3, v[48:49]
	v_add_u32_e32 v52, 0x75, v48
	v_add_co_u32_e32 v4, vcc, v7, v4
	v_addc_co_u32_e32 v5, vcc, v8, v5, vcc
	s_waitcnt lgkmcnt(0)
	global_store_dwordx2 v[4:5], v[0:1], off
	v_lshlrev_b64 v[0:1], 3, v[52:53]
	v_add_u32_e32 v52, 0xea, v48
	v_add_co_u32_e32 v0, vcc, v7, v0
	v_addc_co_u32_e32 v1, vcc, v8, v1, vcc
	global_store_dwordx2 v[0:1], v[2:3], off
	v_add_u32_e32 v0, 0x400, v6
	ds_read2_b64 v[0:3], v0 offset0:106 offset1:223
	v_lshlrev_b64 v[4:5], 3, v[52:53]
	v_add_u32_e32 v52, 0x15f, v48
	v_add_co_u32_e32 v4, vcc, v7, v4
	v_addc_co_u32_e32 v5, vcc, v8, v5, vcc
	s_waitcnt lgkmcnt(0)
	global_store_dwordx2 v[4:5], v[0:1], off
	v_lshlrev_b64 v[0:1], 3, v[52:53]
	v_add_u32_e32 v52, 0x1d4, v48
	v_add_co_u32_e32 v0, vcc, v7, v0
	v_addc_co_u32_e32 v1, vcc, v8, v1, vcc
	global_store_dwordx2 v[0:1], v[2:3], off
	v_add_u32_e32 v0, 0xc00, v6
	ds_read2_b64 v[0:3], v0 offset0:84 offset1:201
	;; [unrolled: 13-line block ×5, first 2 shown]
	v_lshlrev_b64 v[4:5], 3, v[52:53]
	v_add_u32_e32 v52, 0x507, v48
	v_add_co_u32_e32 v4, vcc, v7, v4
	v_addc_co_u32_e32 v5, vcc, v8, v5, vcc
	s_waitcnt lgkmcnt(0)
	global_store_dwordx2 v[4:5], v[0:1], off
	v_lshlrev_b64 v[0:1], 3, v[52:53]
	v_add_co_u32_e32 v0, vcc, v7, v0
	v_addc_co_u32_e32 v1, vcc, v8, v1, vcc
	global_store_dwordx2 v[0:1], v[2:3], off
.LBB0_23:
	s_endpgm
	.section	.rodata,"a",@progbits
	.p2align	6, 0x0
	.amdhsa_kernel fft_rtc_fwd_len1404_factors_2_2_3_13_3_3_wgs_117_tpt_117_halfLds_sp_ip_CI_unitstride_sbrr_C2R_dirReg
		.amdhsa_group_segment_fixed_size 0
		.amdhsa_private_segment_fixed_size 0
		.amdhsa_kernarg_size 88
		.amdhsa_user_sgpr_count 6
		.amdhsa_user_sgpr_private_segment_buffer 1
		.amdhsa_user_sgpr_dispatch_ptr 0
		.amdhsa_user_sgpr_queue_ptr 0
		.amdhsa_user_sgpr_kernarg_segment_ptr 1
		.amdhsa_user_sgpr_dispatch_id 0
		.amdhsa_user_sgpr_flat_scratch_init 0
		.amdhsa_user_sgpr_private_segment_size 0
		.amdhsa_uses_dynamic_stack 0
		.amdhsa_system_sgpr_private_segment_wavefront_offset 0
		.amdhsa_system_sgpr_workgroup_id_x 1
		.amdhsa_system_sgpr_workgroup_id_y 0
		.amdhsa_system_sgpr_workgroup_id_z 0
		.amdhsa_system_sgpr_workgroup_info 0
		.amdhsa_system_vgpr_workitem_id 0
		.amdhsa_next_free_vgpr 114
		.amdhsa_next_free_sgpr 22
		.amdhsa_reserve_vcc 1
		.amdhsa_reserve_flat_scratch 0
		.amdhsa_float_round_mode_32 0
		.amdhsa_float_round_mode_16_64 0
		.amdhsa_float_denorm_mode_32 3
		.amdhsa_float_denorm_mode_16_64 3
		.amdhsa_dx10_clamp 1
		.amdhsa_ieee_mode 1
		.amdhsa_fp16_overflow 0
		.amdhsa_exception_fp_ieee_invalid_op 0
		.amdhsa_exception_fp_denorm_src 0
		.amdhsa_exception_fp_ieee_div_zero 0
		.amdhsa_exception_fp_ieee_overflow 0
		.amdhsa_exception_fp_ieee_underflow 0
		.amdhsa_exception_fp_ieee_inexact 0
		.amdhsa_exception_int_div_zero 0
	.end_amdhsa_kernel
	.text
.Lfunc_end0:
	.size	fft_rtc_fwd_len1404_factors_2_2_3_13_3_3_wgs_117_tpt_117_halfLds_sp_ip_CI_unitstride_sbrr_C2R_dirReg, .Lfunc_end0-fft_rtc_fwd_len1404_factors_2_2_3_13_3_3_wgs_117_tpt_117_halfLds_sp_ip_CI_unitstride_sbrr_C2R_dirReg
                                        ; -- End function
	.section	.AMDGPU.csdata,"",@progbits
; Kernel info:
; codeLenInByte = 9560
; NumSgprs: 26
; NumVgprs: 114
; ScratchSize: 0
; MemoryBound: 0
; FloatMode: 240
; IeeeMode: 1
; LDSByteSize: 0 bytes/workgroup (compile time only)
; SGPRBlocks: 3
; VGPRBlocks: 28
; NumSGPRsForWavesPerEU: 26
; NumVGPRsForWavesPerEU: 114
; Occupancy: 2
; WaveLimiterHint : 1
; COMPUTE_PGM_RSRC2:SCRATCH_EN: 0
; COMPUTE_PGM_RSRC2:USER_SGPR: 6
; COMPUTE_PGM_RSRC2:TRAP_HANDLER: 0
; COMPUTE_PGM_RSRC2:TGID_X_EN: 1
; COMPUTE_PGM_RSRC2:TGID_Y_EN: 0
; COMPUTE_PGM_RSRC2:TGID_Z_EN: 0
; COMPUTE_PGM_RSRC2:TIDIG_COMP_CNT: 0
	.type	__hip_cuid_e43334d630fbcbdf,@object ; @__hip_cuid_e43334d630fbcbdf
	.section	.bss,"aw",@nobits
	.globl	__hip_cuid_e43334d630fbcbdf
__hip_cuid_e43334d630fbcbdf:
	.byte	0                               ; 0x0
	.size	__hip_cuid_e43334d630fbcbdf, 1

	.ident	"AMD clang version 19.0.0git (https://github.com/RadeonOpenCompute/llvm-project roc-6.4.0 25133 c7fe45cf4b819c5991fe208aaa96edf142730f1d)"
	.section	".note.GNU-stack","",@progbits
	.addrsig
	.addrsig_sym __hip_cuid_e43334d630fbcbdf
	.amdgpu_metadata
---
amdhsa.kernels:
  - .args:
      - .actual_access:  read_only
        .address_space:  global
        .offset:         0
        .size:           8
        .value_kind:     global_buffer
      - .offset:         8
        .size:           8
        .value_kind:     by_value
      - .actual_access:  read_only
        .address_space:  global
        .offset:         16
        .size:           8
        .value_kind:     global_buffer
      - .actual_access:  read_only
        .address_space:  global
        .offset:         24
        .size:           8
        .value_kind:     global_buffer
      - .offset:         32
        .size:           8
        .value_kind:     by_value
      - .actual_access:  read_only
        .address_space:  global
        .offset:         40
        .size:           8
        .value_kind:     global_buffer
      - .actual_access:  read_only
        .address_space:  global
        .offset:         48
        .size:           8
        .value_kind:     global_buffer
      - .offset:         56
        .size:           4
        .value_kind:     by_value
      - .actual_access:  read_only
        .address_space:  global
        .offset:         64
        .size:           8
        .value_kind:     global_buffer
      - .actual_access:  read_only
        .address_space:  global
        .offset:         72
        .size:           8
        .value_kind:     global_buffer
      - .address_space:  global
        .offset:         80
        .size:           8
        .value_kind:     global_buffer
    .group_segment_fixed_size: 0
    .kernarg_segment_align: 8
    .kernarg_segment_size: 88
    .language:       OpenCL C
    .language_version:
      - 2
      - 0
    .max_flat_workgroup_size: 117
    .name:           fft_rtc_fwd_len1404_factors_2_2_3_13_3_3_wgs_117_tpt_117_halfLds_sp_ip_CI_unitstride_sbrr_C2R_dirReg
    .private_segment_fixed_size: 0
    .sgpr_count:     26
    .sgpr_spill_count: 0
    .symbol:         fft_rtc_fwd_len1404_factors_2_2_3_13_3_3_wgs_117_tpt_117_halfLds_sp_ip_CI_unitstride_sbrr_C2R_dirReg.kd
    .uniform_work_group_size: 1
    .uses_dynamic_stack: false
    .vgpr_count:     114
    .vgpr_spill_count: 0
    .wavefront_size: 64
amdhsa.target:   amdgcn-amd-amdhsa--gfx906
amdhsa.version:
  - 1
  - 2
...

	.end_amdgpu_metadata
